;; amdgpu-corpus repo=ROCm/rocFFT kind=compiled arch=gfx1030 opt=O3
	.text
	.amdgcn_target "amdgcn-amd-amdhsa--gfx1030"
	.amdhsa_code_object_version 6
	.protected	fft_rtc_fwd_len1134_factors_2_3_3_3_3_7_wgs_126_tpt_126_dp_op_CI_CI_unitstride_sbrr_C2R_dirReg ; -- Begin function fft_rtc_fwd_len1134_factors_2_3_3_3_3_7_wgs_126_tpt_126_dp_op_CI_CI_unitstride_sbrr_C2R_dirReg
	.globl	fft_rtc_fwd_len1134_factors_2_3_3_3_3_7_wgs_126_tpt_126_dp_op_CI_CI_unitstride_sbrr_C2R_dirReg
	.p2align	8
	.type	fft_rtc_fwd_len1134_factors_2_3_3_3_3_7_wgs_126_tpt_126_dp_op_CI_CI_unitstride_sbrr_C2R_dirReg,@function
fft_rtc_fwd_len1134_factors_2_3_3_3_3_7_wgs_126_tpt_126_dp_op_CI_CI_unitstride_sbrr_C2R_dirReg: ; @fft_rtc_fwd_len1134_factors_2_3_3_3_3_7_wgs_126_tpt_126_dp_op_CI_CI_unitstride_sbrr_C2R_dirReg
; %bb.0:
	s_clause 0x2
	s_load_dwordx4 s[12:15], s[4:5], 0x0
	s_load_dwordx4 s[8:11], s[4:5], 0x58
	;; [unrolled: 1-line block ×3, first 2 shown]
	v_mul_u32_u24_e32 v1, 0x209, v0
	v_mov_b32_e32 v3, 0
	v_add_nc_u32_sdwa v5, s6, v1 dst_sel:DWORD dst_unused:UNUSED_PAD src0_sel:DWORD src1_sel:WORD_1
	v_mov_b32_e32 v1, 0
	v_mov_b32_e32 v6, v3
	v_mov_b32_e32 v2, 0
	s_waitcnt lgkmcnt(0)
	v_cmp_lt_u64_e64 s0, s[14:15], 2
	s_and_b32 vcc_lo, exec_lo, s0
	s_cbranch_vccnz .LBB0_8
; %bb.1:
	s_load_dwordx2 s[0:1], s[4:5], 0x10
	v_mov_b32_e32 v1, 0
	v_mov_b32_e32 v2, 0
	s_add_u32 s2, s18, 8
	s_addc_u32 s3, s19, 0
	s_add_u32 s6, s16, 8
	s_addc_u32 s7, s17, 0
	v_mov_b32_e32 v57, v2
	v_mov_b32_e32 v56, v1
	s_mov_b64 s[22:23], 1
	s_waitcnt lgkmcnt(0)
	s_add_u32 s20, s0, 8
	s_addc_u32 s21, s1, 0
.LBB0_2:                                ; =>This Inner Loop Header: Depth=1
	s_load_dwordx2 s[24:25], s[20:21], 0x0
                                        ; implicit-def: $vgpr58_vgpr59
	s_mov_b32 s0, exec_lo
	s_waitcnt lgkmcnt(0)
	v_or_b32_e32 v4, s25, v6
	v_cmpx_ne_u64_e32 0, v[3:4]
	s_xor_b32 s1, exec_lo, s0
	s_cbranch_execz .LBB0_4
; %bb.3:                                ;   in Loop: Header=BB0_2 Depth=1
	v_cvt_f32_u32_e32 v4, s24
	v_cvt_f32_u32_e32 v7, s25
	s_sub_u32 s0, 0, s24
	s_subb_u32 s26, 0, s25
	v_fmac_f32_e32 v4, 0x4f800000, v7
	v_rcp_f32_e32 v4, v4
	v_mul_f32_e32 v4, 0x5f7ffffc, v4
	v_mul_f32_e32 v7, 0x2f800000, v4
	v_trunc_f32_e32 v7, v7
	v_fmac_f32_e32 v4, 0xcf800000, v7
	v_cvt_u32_f32_e32 v7, v7
	v_cvt_u32_f32_e32 v4, v4
	v_mul_lo_u32 v8, s0, v7
	v_mul_hi_u32 v9, s0, v4
	v_mul_lo_u32 v10, s26, v4
	v_add_nc_u32_e32 v8, v9, v8
	v_mul_lo_u32 v9, s0, v4
	v_add_nc_u32_e32 v8, v8, v10
	v_mul_hi_u32 v10, v4, v9
	v_mul_lo_u32 v11, v4, v8
	v_mul_hi_u32 v12, v4, v8
	v_mul_hi_u32 v13, v7, v9
	v_mul_lo_u32 v9, v7, v9
	v_mul_hi_u32 v14, v7, v8
	v_mul_lo_u32 v8, v7, v8
	v_add_co_u32 v10, vcc_lo, v10, v11
	v_add_co_ci_u32_e32 v11, vcc_lo, 0, v12, vcc_lo
	v_add_co_u32 v9, vcc_lo, v10, v9
	v_add_co_ci_u32_e32 v9, vcc_lo, v11, v13, vcc_lo
	v_add_co_ci_u32_e32 v10, vcc_lo, 0, v14, vcc_lo
	v_add_co_u32 v8, vcc_lo, v9, v8
	v_add_co_ci_u32_e32 v9, vcc_lo, 0, v10, vcc_lo
	v_add_co_u32 v4, vcc_lo, v4, v8
	v_add_co_ci_u32_e32 v7, vcc_lo, v7, v9, vcc_lo
	v_mul_hi_u32 v8, s0, v4
	v_mul_lo_u32 v10, s26, v4
	v_mul_lo_u32 v9, s0, v7
	v_add_nc_u32_e32 v8, v8, v9
	v_mul_lo_u32 v9, s0, v4
	v_add_nc_u32_e32 v8, v8, v10
	v_mul_hi_u32 v10, v4, v9
	v_mul_lo_u32 v11, v4, v8
	v_mul_hi_u32 v12, v4, v8
	v_mul_hi_u32 v13, v7, v9
	v_mul_lo_u32 v9, v7, v9
	v_mul_hi_u32 v14, v7, v8
	v_mul_lo_u32 v8, v7, v8
	v_add_co_u32 v10, vcc_lo, v10, v11
	v_add_co_ci_u32_e32 v11, vcc_lo, 0, v12, vcc_lo
	v_add_co_u32 v9, vcc_lo, v10, v9
	v_add_co_ci_u32_e32 v9, vcc_lo, v11, v13, vcc_lo
	v_add_co_ci_u32_e32 v10, vcc_lo, 0, v14, vcc_lo
	v_add_co_u32 v8, vcc_lo, v9, v8
	v_add_co_ci_u32_e32 v9, vcc_lo, 0, v10, vcc_lo
	v_add_co_u32 v4, vcc_lo, v4, v8
	v_add_co_ci_u32_e32 v11, vcc_lo, v7, v9, vcc_lo
	v_mul_hi_u32 v13, v5, v4
	v_mad_u64_u32 v[9:10], null, v6, v4, 0
	v_mad_u64_u32 v[7:8], null, v5, v11, 0
	;; [unrolled: 1-line block ×3, first 2 shown]
	v_add_co_u32 v4, vcc_lo, v13, v7
	v_add_co_ci_u32_e32 v7, vcc_lo, 0, v8, vcc_lo
	v_add_co_u32 v4, vcc_lo, v4, v9
	v_add_co_ci_u32_e32 v4, vcc_lo, v7, v10, vcc_lo
	v_add_co_ci_u32_e32 v7, vcc_lo, 0, v12, vcc_lo
	v_add_co_u32 v4, vcc_lo, v4, v11
	v_add_co_ci_u32_e32 v9, vcc_lo, 0, v7, vcc_lo
	v_mul_lo_u32 v10, s25, v4
	v_mad_u64_u32 v[7:8], null, s24, v4, 0
	v_mul_lo_u32 v11, s24, v9
	v_sub_co_u32 v7, vcc_lo, v5, v7
	v_add3_u32 v8, v8, v11, v10
	v_sub_nc_u32_e32 v10, v6, v8
	v_subrev_co_ci_u32_e64 v10, s0, s25, v10, vcc_lo
	v_add_co_u32 v11, s0, v4, 2
	v_add_co_ci_u32_e64 v12, s0, 0, v9, s0
	v_sub_co_u32 v13, s0, v7, s24
	v_sub_co_ci_u32_e32 v8, vcc_lo, v6, v8, vcc_lo
	v_subrev_co_ci_u32_e64 v10, s0, 0, v10, s0
	v_cmp_le_u32_e32 vcc_lo, s24, v13
	v_cmp_eq_u32_e64 s0, s25, v8
	v_cndmask_b32_e64 v13, 0, -1, vcc_lo
	v_cmp_le_u32_e32 vcc_lo, s25, v10
	v_cndmask_b32_e64 v14, 0, -1, vcc_lo
	v_cmp_le_u32_e32 vcc_lo, s24, v7
	;; [unrolled: 2-line block ×3, first 2 shown]
	v_cndmask_b32_e64 v15, 0, -1, vcc_lo
	v_cmp_eq_u32_e32 vcc_lo, s25, v10
	v_cndmask_b32_e64 v7, v15, v7, s0
	v_cndmask_b32_e32 v10, v14, v13, vcc_lo
	v_add_co_u32 v13, vcc_lo, v4, 1
	v_add_co_ci_u32_e32 v14, vcc_lo, 0, v9, vcc_lo
	v_cmp_ne_u32_e32 vcc_lo, 0, v10
	v_cndmask_b32_e32 v8, v14, v12, vcc_lo
	v_cndmask_b32_e32 v10, v13, v11, vcc_lo
	v_cmp_ne_u32_e32 vcc_lo, 0, v7
	v_cndmask_b32_e32 v59, v9, v8, vcc_lo
	v_cndmask_b32_e32 v58, v4, v10, vcc_lo
.LBB0_4:                                ;   in Loop: Header=BB0_2 Depth=1
	s_andn2_saveexec_b32 s0, s1
	s_cbranch_execz .LBB0_6
; %bb.5:                                ;   in Loop: Header=BB0_2 Depth=1
	v_cvt_f32_u32_e32 v4, s24
	s_sub_i32 s1, 0, s24
	v_mov_b32_e32 v59, v3
	v_rcp_iflag_f32_e32 v4, v4
	v_mul_f32_e32 v4, 0x4f7ffffe, v4
	v_cvt_u32_f32_e32 v4, v4
	v_mul_lo_u32 v7, s1, v4
	v_mul_hi_u32 v7, v4, v7
	v_add_nc_u32_e32 v4, v4, v7
	v_mul_hi_u32 v4, v5, v4
	v_mul_lo_u32 v7, v4, s24
	v_add_nc_u32_e32 v8, 1, v4
	v_sub_nc_u32_e32 v7, v5, v7
	v_subrev_nc_u32_e32 v9, s24, v7
	v_cmp_le_u32_e32 vcc_lo, s24, v7
	v_cndmask_b32_e32 v7, v7, v9, vcc_lo
	v_cndmask_b32_e32 v4, v4, v8, vcc_lo
	v_cmp_le_u32_e32 vcc_lo, s24, v7
	v_add_nc_u32_e32 v8, 1, v4
	v_cndmask_b32_e32 v58, v4, v8, vcc_lo
.LBB0_6:                                ;   in Loop: Header=BB0_2 Depth=1
	s_or_b32 exec_lo, exec_lo, s0
	v_mul_lo_u32 v4, v59, s24
	v_mul_lo_u32 v9, v58, s25
	s_load_dwordx2 s[0:1], s[6:7], 0x0
	v_mad_u64_u32 v[7:8], null, v58, s24, 0
	s_load_dwordx2 s[24:25], s[2:3], 0x0
	s_add_u32 s22, s22, 1
	s_addc_u32 s23, s23, 0
	s_add_u32 s2, s2, 8
	s_addc_u32 s3, s3, 0
	s_add_u32 s6, s6, 8
	v_add3_u32 v4, v8, v9, v4
	v_sub_co_u32 v5, vcc_lo, v5, v7
	s_addc_u32 s7, s7, 0
	s_add_u32 s20, s20, 8
	v_sub_co_ci_u32_e32 v4, vcc_lo, v6, v4, vcc_lo
	s_addc_u32 s21, s21, 0
	s_waitcnt lgkmcnt(0)
	v_mul_lo_u32 v6, s0, v4
	v_mul_lo_u32 v7, s1, v5
	v_mad_u64_u32 v[1:2], null, s0, v5, v[1:2]
	v_mul_lo_u32 v4, s24, v4
	v_mul_lo_u32 v8, s25, v5
	v_mad_u64_u32 v[56:57], null, s24, v5, v[56:57]
	v_cmp_ge_u64_e64 s0, s[22:23], s[14:15]
	v_add3_u32 v2, v7, v2, v6
	v_add3_u32 v57, v8, v57, v4
	s_and_b32 vcc_lo, exec_lo, s0
	s_cbranch_vccnz .LBB0_9
; %bb.7:                                ;   in Loop: Header=BB0_2 Depth=1
	v_mov_b32_e32 v5, v58
	v_mov_b32_e32 v6, v59
	s_branch .LBB0_2
.LBB0_8:
	v_mov_b32_e32 v57, v2
	v_mov_b32_e32 v59, v6
	;; [unrolled: 1-line block ×4, first 2 shown]
.LBB0_9:
	s_load_dwordx2 s[0:1], s[4:5], 0x28
	v_mul_hi_u32 v3, 0x2082083, v0
	s_lshl_b64 s[4:5], s[14:15], 3
                                        ; implicit-def: $vgpr60
	s_add_u32 s2, s18, s4
	s_addc_u32 s3, s19, s5
	s_waitcnt lgkmcnt(0)
	v_cmp_gt_u64_e32 vcc_lo, s[0:1], v[58:59]
	v_cmp_le_u64_e64 s0, s[0:1], v[58:59]
	s_and_saveexec_b32 s1, s0
	s_xor_b32 s0, exec_lo, s1
; %bb.10:
	v_mul_u32_u24_e32 v1, 0x7e, v3
                                        ; implicit-def: $vgpr3
	v_sub_nc_u32_e32 v60, v0, v1
                                        ; implicit-def: $vgpr0
                                        ; implicit-def: $vgpr1_vgpr2
; %bb.11:
	s_or_saveexec_b32 s1, s0
	s_load_dwordx2 s[2:3], s[2:3], 0x0
	s_xor_b32 exec_lo, exec_lo, s1
	s_cbranch_execz .LBB0_15
; %bb.12:
	s_add_u32 s4, s16, s4
	s_addc_u32 s5, s17, s5
	v_lshlrev_b64 v[1:2], 4, v[1:2]
	s_load_dwordx2 s[4:5], s[4:5], 0x0
	s_waitcnt lgkmcnt(0)
	v_mul_lo_u32 v6, s5, v58
	v_mul_lo_u32 v7, s4, v59
	v_mad_u64_u32 v[4:5], null, s4, v58, 0
	s_mov_b32 s4, exec_lo
	v_add3_u32 v5, v5, v7, v6
	v_mul_u32_u24_e32 v6, 0x7e, v3
	v_lshlrev_b64 v[3:4], 4, v[4:5]
	v_sub_nc_u32_e32 v60, v0, v6
	v_lshlrev_b32_e32 v38, 4, v60
	v_add_co_u32 v0, s0, s8, v3
	v_add_co_ci_u32_e64 v3, s0, s9, v4, s0
	v_add_co_u32 v0, s0, v0, v1
	v_add_co_ci_u32_e64 v1, s0, v3, v2, s0
	;; [unrolled: 2-line block ×3, first 2 shown]
	s_clause 0x1
	global_load_dwordx4 v[2:5], v[10:11], off
	global_load_dwordx4 v[6:9], v[10:11], off offset:2016
	v_add_co_u32 v12, s0, 0x800, v10
	v_add_co_ci_u32_e64 v13, s0, 0, v11, s0
	v_add_co_u32 v14, s0, 0x1000, v10
	v_add_co_ci_u32_e64 v15, s0, 0, v11, s0
	;; [unrolled: 2-line block ×7, first 2 shown]
	s_clause 0x6
	global_load_dwordx4 v[10:13], v[12:13], off offset:1984
	global_load_dwordx4 v[14:17], v[14:15], off offset:1952
	;; [unrolled: 1-line block ×7, first 2 shown]
	v_add_nc_u32_e32 v38, 0, v38
	s_waitcnt vmcnt(8)
	ds_write_b128 v38, v[2:5]
	s_waitcnt vmcnt(7)
	ds_write_b128 v38, v[6:9] offset:2016
	s_waitcnt vmcnt(6)
	ds_write_b128 v38, v[10:13] offset:4032
	s_waitcnt vmcnt(5)
	ds_write_b128 v38, v[14:17] offset:6048
	s_waitcnt vmcnt(4)
	ds_write_b128 v38, v[18:21] offset:8064
	s_waitcnt vmcnt(3)
	ds_write_b128 v38, v[22:25] offset:10080
	s_waitcnt vmcnt(2)
	ds_write_b128 v38, v[26:29] offset:12096
	s_waitcnt vmcnt(1)
	ds_write_b128 v38, v[30:33] offset:14112
	s_waitcnt vmcnt(0)
	ds_write_b128 v38, v[34:37] offset:16128
	v_cmpx_eq_u32_e32 0x7d, v60
	s_cbranch_execz .LBB0_14
; %bb.13:
	v_add_co_u32 v0, s0, 0x4000, v0
	v_add_co_ci_u32_e64 v1, s0, 0, v1, s0
	v_mov_b32_e32 v4, 0
	v_mov_b32_e32 v60, 0x7d
	global_load_dwordx4 v[0:3], v[0:1], off offset:1760
	s_waitcnt vmcnt(0)
	ds_write_b128 v4, v[0:3] offset:18144
.LBB0_14:
	s_or_b32 exec_lo, exec_lo, s4
.LBB0_15:
	s_or_b32 exec_lo, exec_lo, s1
	v_lshlrev_b32_e32 v9, 4, v60
	s_waitcnt lgkmcnt(0)
	s_barrier
	buffer_gl0_inv
	s_add_u32 s1, s12, 0x46c0
	v_add_nc_u32_e32 v62, 0, v9
	v_sub_nc_u32_e32 v6, 0, v9
	s_addc_u32 s4, s13, 0
	s_mov_b32 s5, exec_lo
	ds_read_b64 v[2:3], v62
	ds_read_b64 v[4:5], v6 offset:18144
	s_waitcnt lgkmcnt(0)
	v_add_f64 v[0:1], v[2:3], v[4:5]
	v_add_f64 v[2:3], v[2:3], -v[4:5]
                                        ; implicit-def: $vgpr4_vgpr5
	v_cmpx_ne_u32_e32 0, v60
	s_xor_b32 s5, exec_lo, s5
	s_cbranch_execz .LBB0_17
; %bb.16:
	v_mov_b32_e32 v61, 0
	v_lshlrev_b64 v[4:5], 4, v[60:61]
	v_add_co_u32 v4, s0, s1, v4
	v_add_co_ci_u32_e64 v5, s0, s4, v5, s0
	global_load_dwordx4 v[10:13], v[4:5], off
	ds_read_b64 v[4:5], v6 offset:18152
	ds_read_b64 v[7:8], v62 offset:8
	s_waitcnt lgkmcnt(0)
	v_add_f64 v[16:17], v[4:5], v[7:8]
	v_add_f64 v[4:5], v[7:8], -v[4:5]
	s_waitcnt vmcnt(0)
	v_fma_f64 v[7:8], v[2:3], v[12:13], v[0:1]
	v_fma_f64 v[14:15], v[16:17], v[12:13], v[4:5]
	v_fma_f64 v[0:1], -v[2:3], v[12:13], v[0:1]
	v_fma_f64 v[4:5], v[16:17], v[12:13], -v[4:5]
	v_fma_f64 v[12:13], -v[16:17], v[10:11], v[7:8]
	v_fma_f64 v[14:15], v[2:3], v[10:11], v[14:15]
	v_fma_f64 v[0:1], v[16:17], v[10:11], v[0:1]
	;; [unrolled: 1-line block ×3, first 2 shown]
	v_mov_b32_e32 v4, v60
	v_mov_b32_e32 v5, v61
	ds_write_b128 v62, v[12:15]
	ds_write_b128 v6, v[0:3] offset:18144
                                        ; implicit-def: $vgpr0_vgpr1
.LBB0_17:
	s_andn2_saveexec_b32 s0, s5
	s_cbranch_execz .LBB0_19
; %bb.18:
	v_mov_b32_e32 v7, 0
	ds_write_b128 v62, v[0:3]
	v_mov_b32_e32 v4, 0
	v_mov_b32_e32 v5, 0
	ds_read_b128 v[0:3], v7 offset:9072
	s_waitcnt lgkmcnt(0)
	v_add_f64 v[0:1], v[0:1], v[0:1]
	v_mul_f64 v[2:3], v[2:3], -2.0
	ds_write_b128 v7, v[0:3] offset:9072
.LBB0_19:
	s_or_b32 exec_lo, exec_lo, s0
	v_lshlrev_b64 v[0:1], 4, v[4:5]
	v_add_co_u32 v0, s0, s1, v0
	v_add_co_ci_u32_e64 v1, s0, s4, v1, s0
	v_add_co_u32 v7, s0, 0x800, v0
	global_load_dwordx4 v[2:5], v[0:1], off offset:2016
	v_add_co_ci_u32_e64 v8, s0, 0, v1, s0
	global_load_dwordx4 v[10:13], v[7:8], off offset:1984
	v_add_co_u32 v7, s0, 0x1000, v0
	v_add_co_ci_u32_e64 v8, s0, 0, v1, s0
	v_cmp_gt_u32_e64 s0, 63, v60
	global_load_dwordx4 v[14:17], v[7:8], off offset:1952
	ds_read_b128 v[18:21], v62 offset:2016
	ds_read_b128 v[22:25], v6 offset:16128
	s_waitcnt lgkmcnt(0)
	v_add_f64 v[7:8], v[18:19], v[22:23]
	v_add_f64 v[26:27], v[24:25], v[20:21]
	v_add_f64 v[28:29], v[18:19], -v[22:23]
	v_add_f64 v[18:19], v[20:21], -v[24:25]
	s_waitcnt vmcnt(2)
	v_fma_f64 v[20:21], v[28:29], v[4:5], v[7:8]
	v_fma_f64 v[22:23], v[26:27], v[4:5], v[18:19]
	v_fma_f64 v[7:8], -v[28:29], v[4:5], v[7:8]
	v_fma_f64 v[4:5], v[26:27], v[4:5], -v[18:19]
	v_fma_f64 v[18:19], -v[26:27], v[2:3], v[20:21]
	v_fma_f64 v[20:21], v[28:29], v[2:3], v[22:23]
	v_fma_f64 v[22:23], v[26:27], v[2:3], v[7:8]
	v_fma_f64 v[24:25], v[28:29], v[2:3], v[4:5]
	ds_write_b128 v62, v[18:21] offset:2016
	ds_write_b128 v6, v[22:25] offset:16128
	ds_read_b128 v[2:5], v62 offset:4032
	ds_read_b128 v[18:21], v6 offset:14112
	s_waitcnt lgkmcnt(0)
	v_add_f64 v[7:8], v[2:3], v[18:19]
	v_add_f64 v[22:23], v[20:21], v[4:5]
	v_add_f64 v[24:25], v[2:3], -v[18:19]
	v_add_f64 v[2:3], v[4:5], -v[20:21]
	s_waitcnt vmcnt(1)
	v_fma_f64 v[4:5], v[24:25], v[12:13], v[7:8]
	v_fma_f64 v[18:19], v[22:23], v[12:13], v[2:3]
	v_fma_f64 v[7:8], -v[24:25], v[12:13], v[7:8]
	v_fma_f64 v[12:13], v[22:23], v[12:13], -v[2:3]
	v_fma_f64 v[2:3], -v[22:23], v[10:11], v[4:5]
	v_fma_f64 v[4:5], v[24:25], v[10:11], v[18:19]
	v_fma_f64 v[18:19], v[22:23], v[10:11], v[7:8]
	v_fma_f64 v[20:21], v[24:25], v[10:11], v[12:13]
	ds_write_b128 v62, v[2:5] offset:4032
	ds_write_b128 v6, v[18:21] offset:14112
	;; [unrolled: 18-line block ×3, first 2 shown]
	s_and_saveexec_b32 s4, s0
	s_cbranch_execz .LBB0_21
; %bb.20:
	v_add_co_u32 v0, s1, 0x1800, v0
	v_add_co_ci_u32_e64 v1, s1, 0, v1, s1
	global_load_dwordx4 v[0:3], v[0:1], off offset:1920
	ds_read_b128 v[10:13], v62 offset:8064
	ds_read_b128 v[14:17], v6 offset:10080
	s_waitcnt lgkmcnt(0)
	v_add_f64 v[4:5], v[10:11], v[14:15]
	v_add_f64 v[7:8], v[16:17], v[12:13]
	v_add_f64 v[14:15], v[10:11], -v[14:15]
	v_add_f64 v[10:11], v[12:13], -v[16:17]
	s_waitcnt vmcnt(0)
	v_fma_f64 v[12:13], v[14:15], v[2:3], v[4:5]
	v_fma_f64 v[16:17], v[7:8], v[2:3], v[10:11]
	v_fma_f64 v[18:19], -v[14:15], v[2:3], v[4:5]
	v_fma_f64 v[20:21], v[7:8], v[2:3], -v[10:11]
	v_fma_f64 v[2:3], -v[7:8], v[0:1], v[12:13]
	v_fma_f64 v[4:5], v[14:15], v[0:1], v[16:17]
	v_fma_f64 v[10:11], v[7:8], v[0:1], v[18:19]
	;; [unrolled: 1-line block ×3, first 2 shown]
	ds_write_b128 v62, v[2:5] offset:8064
	ds_write_b128 v6, v[10:13] offset:10080
.LBB0_21:
	s_or_b32 exec_lo, exec_lo, s4
	s_waitcnt lgkmcnt(0)
	s_barrier
	buffer_gl0_inv
	s_barrier
	buffer_gl0_inv
	ds_read_b128 v[0:3], v62 offset:9072
	ds_read_b128 v[10:13], v62
	ds_read_b128 v[14:17], v62 offset:2016
	ds_read_b128 v[18:21], v62 offset:11088
	ds_read_b128 v[22:25], v62 offset:13104
	ds_read_b128 v[26:29], v62 offset:4032
	ds_read_b128 v[30:33], v62 offset:6048
	ds_read_b128 v[34:37], v62 offset:15120
	ds_read_b128 v[4:7], v62 offset:8064
	ds_read_b128 v[38:41], v62 offset:17136
	v_add_nc_u32_e32 v61, 0x7e, v60
	v_add_nc_u32_e32 v8, 0xfc, v60
	;; [unrolled: 1-line block ×3, first 2 shown]
	s_waitcnt lgkmcnt(0)
	s_barrier
	buffer_gl0_inv
	v_add_f64 v[42:43], v[10:11], -v[0:1]
	v_add_f64 v[44:45], v[12:13], -v[2:3]
	v_add_f64 v[18:19], v[14:15], -v[18:19]
	v_add_f64 v[20:21], v[16:17], -v[20:21]
	v_add_f64 v[22:23], v[26:27], -v[22:23]
	v_add_f64 v[24:25], v[28:29], -v[24:25]
	v_add_f64 v[34:35], v[30:31], -v[34:35]
	v_add_f64 v[36:37], v[32:33], -v[36:37]
	v_add_f64 v[0:1], v[4:5], -v[38:39]
	v_add_f64 v[2:3], v[6:7], -v[40:41]
	v_lshl_add_u32 v38, v61, 5, 0
	v_lshl_add_u32 v39, v8, 5, 0
	;; [unrolled: 1-line block ×3, first 2 shown]
	v_fma_f64 v[10:11], v[10:11], 2.0, -v[42:43]
	v_fma_f64 v[12:13], v[12:13], 2.0, -v[44:45]
	v_fma_f64 v[14:15], v[14:15], 2.0, -v[18:19]
	v_fma_f64 v[16:17], v[16:17], 2.0, -v[20:21]
	v_fma_f64 v[26:27], v[26:27], 2.0, -v[22:23]
	v_fma_f64 v[28:29], v[28:29], 2.0, -v[24:25]
	v_fma_f64 v[30:31], v[30:31], 2.0, -v[34:35]
	v_fma_f64 v[32:33], v[32:33], 2.0, -v[36:37]
	ds_write_b128 v9, v[42:45] offset:16
	ds_write_b128 v38, v[18:21] offset:16
	;; [unrolled: 1-line block ×3, first 2 shown]
	ds_write_b128 v9, v[10:13]
	ds_write_b128 v38, v[14:17]
	;; [unrolled: 1-line block ×3, first 2 shown]
	ds_write_b128 v40, v[30:33] offset:12096
	ds_write_b128 v40, v[34:37] offset:12112
	s_and_saveexec_b32 s1, s0
	s_cbranch_execz .LBB0_23
; %bb.22:
	v_fma_f64 v[6:7], v[6:7], 2.0, -v[2:3]
	v_fma_f64 v[4:5], v[4:5], 2.0, -v[0:1]
	ds_write_b128 v9, v[4:7] offset:16128
	ds_write_b128 v9, v[0:3] offset:16144
.LBB0_23:
	s_or_b32 exec_lo, exec_lo, s1
	v_and_b32_e32 v55, 1, v60
	s_waitcnt lgkmcnt(0)
	s_barrier
	buffer_gl0_inv
	s_mov_b32 s0, 0xe8584caa
	v_lshlrev_b32_e32 v9, 5, v55
	s_mov_b32 s1, 0x3febb67a
	s_mov_b32 s5, 0xbfebb67a
	;; [unrolled: 1-line block ×3, first 2 shown]
	s_clause 0x1
	global_load_dwordx4 v[4:7], v9, s[12:13]
	global_load_dwordx4 v[9:12], v9, s[12:13] offset:16
	ds_read_b128 v[13:16], v62 offset:6048
	ds_read_b128 v[17:20], v62 offset:12096
	;; [unrolled: 1-line block ×7, first 2 shown]
	s_waitcnt vmcnt(1) lgkmcnt(6)
	v_mul_f64 v[41:42], v[15:16], v[6:7]
	v_mul_f64 v[43:44], v[13:14], v[6:7]
	s_waitcnt vmcnt(0) lgkmcnt(5)
	v_mul_f64 v[45:46], v[19:20], v[11:12]
	v_mul_f64 v[47:48], v[17:18], v[11:12]
	s_waitcnt lgkmcnt(4)
	v_mul_f64 v[49:50], v[23:24], v[6:7]
	v_mul_f64 v[51:52], v[21:22], v[6:7]
	s_waitcnt lgkmcnt(3)
	;; [unrolled: 3-line block ×4, first 2 shown]
	v_mul_f64 v[67:68], v[35:36], v[11:12]
	v_mul_f64 v[11:12], v[33:34], v[11:12]
	v_fma_f64 v[41:42], v[13:14], v[4:5], -v[41:42]
	v_fma_f64 v[43:44], v[15:16], v[4:5], v[43:44]
	v_fma_f64 v[17:18], v[17:18], v[9:10], -v[45:46]
	v_fma_f64 v[19:20], v[19:20], v[9:10], v[47:48]
	v_fma_f64 v[21:22], v[21:22], v[4:5], -v[49:50]
	v_fma_f64 v[23:24], v[23:24], v[4:5], v[51:52]
	v_fma_f64 v[25:26], v[25:26], v[9:10], -v[53:54]
	v_fma_f64 v[27:28], v[27:28], v[9:10], v[63:64]
	v_fma_f64 v[29:30], v[29:30], v[4:5], -v[65:66]
	v_fma_f64 v[31:32], v[31:32], v[4:5], v[6:7]
	v_fma_f64 v[33:34], v[33:34], v[9:10], -v[67:68]
	v_fma_f64 v[35:36], v[35:36], v[9:10], v[11:12]
	v_lshrrev_b32_e32 v53, 1, v61
	v_lshrrev_b32_e32 v63, 1, v8
	ds_read_b128 v[9:12], v62
	ds_read_b128 v[13:16], v62 offset:2016
	v_and_b32_e32 v5, 0xff, v60
	v_mov_b32_e32 v65, 0xaaab
	v_mul_u32_u24_e32 v85, 6, v53
	v_mul_u32_u24_e32 v86, 6, v63
	v_lshrrev_b32_e32 v7, 1, v60
	v_mul_lo_u16 v66, 0xab, v5
	v_mul_u32_u24_sdwa v88, v8, v65 dst_sel:DWORD dst_unused:UNUSED_PAD src0_sel:WORD_0 src1_sel:DWORD
	v_and_b32_e32 v6, 0xff, v61
	v_or_b32_e32 v85, v85, v55
	v_add_f64 v[45:46], v[41:42], v[17:18]
	v_add_f64 v[47:48], v[43:44], v[19:20]
	v_lshrrev_b16 v89, 10, v66
	v_mul_u32_u24_e32 v7, 6, v7
	v_add_f64 v[49:50], v[21:22], v[25:26]
	v_add_f64 v[51:52], v[23:24], v[27:28]
	v_add_f64 v[77:78], v[23:24], -v[27:28]
	v_add_f64 v[79:80], v[21:22], -v[25:26]
	v_add_f64 v[53:54], v[29:30], v[33:34]
	v_add_f64 v[63:64], v[31:32], v[35:36]
	s_waitcnt lgkmcnt(1)
	v_add_f64 v[65:66], v[9:10], v[41:42]
	v_add_f64 v[67:68], v[11:12], v[43:44]
	v_add_f64 v[43:44], v[43:44], -v[19:20]
	v_add_f64 v[41:42], v[41:42], -v[17:18]
	s_waitcnt lgkmcnt(0)
	v_add_f64 v[69:70], v[13:14], v[21:22]
	v_add_f64 v[71:72], v[15:16], v[23:24]
	;; [unrolled: 1-line block ×4, first 2 shown]
	v_add_f64 v[81:82], v[31:32], -v[35:36]
	v_add_f64 v[83:84], v[29:30], -v[33:34]
	v_mul_lo_u16 v87, 0xab, v6
	v_or_b32_e32 v7, v7, v55
	v_fma_f64 v[45:46], v[45:46], -0.5, v[9:10]
	v_fma_f64 v[47:48], v[47:48], -0.5, v[11:12]
	v_or_b32_e32 v55, v86, v55
	v_lshrrev_b16 v86, 10, v87
	v_fma_f64 v[49:50], v[49:50], -0.5, v[13:14]
	v_fma_f64 v[51:52], v[51:52], -0.5, v[15:16]
	v_mov_b32_e32 v4, 5
	v_lshl_add_u32 v7, v7, 4, 0
	v_fma_f64 v[53:54], v[53:54], -0.5, v[37:38]
	v_fma_f64 v[63:64], v[63:64], -0.5, v[39:40]
	v_add_f64 v[9:10], v[65:66], v[17:18]
	v_add_f64 v[11:12], v[67:68], v[19:20]
	s_barrier
	v_add_f64 v[13:14], v[69:70], v[25:26]
	v_add_f64 v[15:16], v[71:72], v[27:28]
	;; [unrolled: 1-line block ×4, first 2 shown]
	buffer_gl0_inv
	v_fma_f64 v[21:22], v[43:44], s[0:1], v[45:46]
	v_fma_f64 v[23:24], v[41:42], s[4:5], v[47:48]
	;; [unrolled: 1-line block ×11, first 2 shown]
	v_lshrrev_b32_e32 v83, 18, v88
	v_mul_lo_u16 v45, v89, 6
	v_fma_f64 v[41:42], v[81:82], s[4:5], v[53:54]
	v_mul_lo_u16 v46, v86, 6
	v_mul_lo_u16 v47, v83, 6
	v_sub_nc_u16 v84, v60, v45
	v_lshl_add_u32 v45, v85, 4, 0
	v_sub_nc_u16 v87, v61, v46
	v_lshl_add_u32 v46, v55, 4, 0
	v_sub_nc_u16 v55, v8, v47
	v_lshlrev_b32_sdwa v47, v4, v84 dst_sel:DWORD dst_unused:UNUSED_PAD src0_sel:DWORD src1_sel:BYTE_0
	ds_write_b128 v7, v[9:12]
	ds_write_b128 v7, v[21:24] offset:32
	ds_write_b128 v7, v[25:28] offset:64
	ds_write_b128 v45, v[13:16]
	ds_write_b128 v45, v[29:32] offset:32
	ds_write_b128 v45, v[33:36] offset:64
	ds_write_b128 v46, v[17:20]
	ds_write_b128 v46, v[37:40] offset:32
	ds_write_b128 v46, v[41:44] offset:64
	v_lshlrev_b32_sdwa v48, v4, v87 dst_sel:DWORD dst_unused:UNUSED_PAD src0_sel:DWORD src1_sel:BYTE_0
	s_waitcnt lgkmcnt(0)
	s_barrier
	buffer_gl0_inv
	s_clause 0x1
	global_load_dwordx4 v[9:12], v47, s[12:13] offset:64
	global_load_dwordx4 v[13:16], v47, s[12:13] offset:80
	v_lshlrev_b32_sdwa v7, v4, v55 dst_sel:DWORD dst_unused:UNUSED_PAD src0_sel:DWORD src1_sel:WORD_0
	s_clause 0x3
	global_load_dwordx4 v[17:20], v48, s[12:13] offset:64
	global_load_dwordx4 v[21:24], v48, s[12:13] offset:80
	;; [unrolled: 1-line block ×4, first 2 shown]
	ds_read_b128 v[33:36], v62 offset:6048
	ds_read_b128 v[37:40], v62 offset:12096
	;; [unrolled: 1-line block ×7, first 2 shown]
	v_mov_b32_e32 v7, 0xe38f
	s_waitcnt vmcnt(5) lgkmcnt(6)
	v_mul_f64 v[53:54], v[35:36], v[11:12]
	s_waitcnt vmcnt(4) lgkmcnt(5)
	v_mul_f64 v[71:72], v[39:40], v[15:16]
	v_mul_f64 v[11:12], v[33:34], v[11:12]
	v_mul_f64 v[15:16], v[37:38], v[15:16]
	s_waitcnt vmcnt(3) lgkmcnt(4)
	v_mul_f64 v[73:74], v[43:44], v[19:20]
	s_waitcnt vmcnt(2) lgkmcnt(3)
	v_mul_f64 v[75:76], v[47:48], v[23:24]
	v_mul_f64 v[19:20], v[41:42], v[19:20]
	v_mul_f64 v[23:24], v[45:46], v[23:24]
	s_waitcnt vmcnt(1) lgkmcnt(2)
	v_mul_f64 v[77:78], v[51:52], v[27:28]
	s_waitcnt vmcnt(0) lgkmcnt(1)
	v_mul_f64 v[79:80], v[65:66], v[31:32]
	v_mul_f64 v[27:28], v[49:50], v[27:28]
	v_mul_f64 v[31:32], v[63:64], v[31:32]
	v_fma_f64 v[33:34], v[33:34], v[9:10], -v[53:54]
	v_fma_f64 v[37:38], v[37:38], v[13:14], -v[71:72]
	v_fma_f64 v[35:36], v[35:36], v[9:10], v[11:12]
	v_fma_f64 v[39:40], v[39:40], v[13:14], v[15:16]
	v_fma_f64 v[41:42], v[41:42], v[17:18], -v[73:74]
	v_fma_f64 v[45:46], v[45:46], v[21:22], -v[75:76]
	v_fma_f64 v[43:44], v[43:44], v[17:18], v[19:20]
	v_fma_f64 v[21:22], v[47:48], v[21:22], v[23:24]
	v_fma_f64 v[23:24], v[49:50], v[25:26], -v[77:78]
	v_fma_f64 v[47:48], v[63:64], v[29:30], -v[79:80]
	v_fma_f64 v[25:26], v[51:52], v[25:26], v[27:28]
	v_fma_f64 v[27:28], v[65:66], v[29:30], v[31:32]
	ds_read_b128 v[13:16], v62
	ds_read_b128 v[17:20], v62 offset:2016
	v_mul_lo_u16 v10, v5, 57
	v_mul_u32_u24_sdwa v65, v8, v7 dst_sel:DWORD dst_unused:UNUSED_PAD src0_sel:WORD_0 src1_sel:DWORD
	v_mul_lo_u16 v11, v6, 57
	v_mov_b32_e32 v9, 0x120
	v_mov_b32_e32 v12, 4
	v_lshrrev_b16 v85, 10, v10
	v_lshrrev_b32_e32 v10, 20, v65
	v_lshrrev_b16 v7, 10, v11
	v_mul_u32_u24_sdwa v11, v89, v9 dst_sel:DWORD dst_unused:UNUSED_PAD src0_sel:WORD_0 src1_sel:DWORD
	s_waitcnt lgkmcnt(0)
	v_add_f64 v[29:30], v[33:34], v[37:38]
	v_mul_lo_u16 v88, v85, 18
	v_add_f64 v[31:32], v[35:36], v[39:40]
	s_barrier
	v_add_f64 v[49:50], v[41:42], v[45:46]
	buffer_gl0_inv
	v_add_f64 v[51:52], v[43:44], v[21:22]
	v_add_f64 v[77:78], v[67:68], v[23:24]
	;; [unrolled: 1-line block ×7, first 2 shown]
	v_add_f64 v[35:36], v[35:36], -v[39:40]
	v_add_f64 v[33:34], v[33:34], -v[37:38]
	v_add_f64 v[73:74], v[17:18], v[41:42]
	v_add_f64 v[75:76], v[19:20], v[43:44]
	v_add_f64 v[43:44], v[43:44], -v[21:22]
	v_add_f64 v[41:42], v[41:42], -v[45:46]
	;; [unrolled: 1-line block ×3, first 2 shown]
	v_fma_f64 v[29:30], v[29:30], -0.5, v[13:14]
	v_fma_f64 v[31:32], v[31:32], -0.5, v[15:16]
	;; [unrolled: 1-line block ×5, first 2 shown]
	v_add_f64 v[67:68], v[23:24], -v[47:48]
	v_fma_f64 v[63:64], v[63:64], -0.5, v[69:70]
	v_add_f64 v[15:16], v[71:72], v[39:40]
	v_add_f64 v[13:14], v[65:66], v[37:38]
	;; [unrolled: 1-line block ×3, first 2 shown]
	v_mul_u32_u24_sdwa v69, v86, v9 dst_sel:DWORD dst_unused:UNUSED_PAD src0_sel:WORD_0 src1_sel:DWORD
	v_add_f64 v[17:18], v[73:74], v[45:46]
	v_add_f64 v[19:20], v[75:76], v[21:22]
	;; [unrolled: 1-line block ×3, first 2 shown]
	v_mul_u32_u24_e32 v70, 0x120, v83
	v_mul_lo_u16 v83, v7, 18
	v_sub_nc_u16 v9, v60, v88
	v_mul_lo_u16 v86, v10, 18
	v_fma_f64 v[25:26], v[35:36], s[0:1], v[29:30]
	v_fma_f64 v[29:30], v[35:36], s[4:5], v[29:30]
	;; [unrolled: 1-line block ×12, first 2 shown]
	v_lshlrev_b32_sdwa v49, v12, v84 dst_sel:DWORD dst_unused:UNUSED_PAD src0_sel:DWORD src1_sel:BYTE_0
	v_lshlrev_b32_sdwa v50, v12, v87 dst_sel:DWORD dst_unused:UNUSED_PAD src0_sel:DWORD src1_sel:BYTE_0
	v_sub_nc_u16 v88, v61, v83
	v_lshlrev_b32_sdwa v51, v12, v55 dst_sel:DWORD dst_unused:UNUSED_PAD src0_sel:DWORD src1_sel:WORD_0
	v_lshlrev_b32_sdwa v52, v4, v9 dst_sel:DWORD dst_unused:UNUSED_PAD src0_sel:DWORD src1_sel:BYTE_0
	v_add3_u32 v11, 0, v11, v49
	v_sub_nc_u16 v86, v8, v86
	v_add3_u32 v49, 0, v69, v50
	v_lshlrev_b32_sdwa v53, v4, v88 dst_sel:DWORD dst_unused:UNUSED_PAD src0_sel:DWORD src1_sel:BYTE_0
	v_add3_u32 v50, 0, v70, v51
	ds_write_b128 v11, v[13:16]
	ds_write_b128 v11, v[25:28] offset:96
	ds_write_b128 v11, v[29:32] offset:192
	ds_write_b128 v49, v[17:20]
	ds_write_b128 v49, v[33:36] offset:96
	ds_write_b128 v49, v[37:40] offset:192
	;; [unrolled: 3-line block ×3, first 2 shown]
	s_waitcnt lgkmcnt(0)
	s_barrier
	buffer_gl0_inv
	s_clause 0x1
	global_load_dwordx4 v[13:16], v52, s[12:13] offset:256
	global_load_dwordx4 v[17:20], v52, s[12:13] offset:272
	v_lshlrev_b32_sdwa v11, v4, v86 dst_sel:DWORD dst_unused:UNUSED_PAD src0_sel:DWORD src1_sel:WORD_0
	s_clause 0x3
	global_load_dwordx4 v[21:24], v53, s[12:13] offset:256
	global_load_dwordx4 v[25:28], v53, s[12:13] offset:272
	global_load_dwordx4 v[29:32], v11, s[12:13] offset:256
	global_load_dwordx4 v[33:36], v11, s[12:13] offset:272
	ds_read_b128 v[37:40], v62 offset:6048
	ds_read_b128 v[41:44], v62 offset:12096
	;; [unrolled: 1-line block ×7, first 2 shown]
	v_mul_lo_u16 v55, v6, 19
	v_mov_b32_e32 v11, 0x360
	v_mul_u32_u24_e32 v10, 0x360, v10
	v_lshrrev_b16 v55, 10, v55
	v_mul_u32_u24_sdwa v85, v85, v11 dst_sel:DWORD dst_unused:UNUSED_PAD src0_sel:WORD_0 src1_sel:DWORD
	v_mul_u32_u24_sdwa v7, v7, v11 dst_sel:DWORD dst_unused:UNUSED_PAD src0_sel:WORD_0 src1_sel:DWORD
	v_mul_lo_u16 v11, v55, 54
	s_waitcnt vmcnt(5) lgkmcnt(6)
	v_mul_f64 v[53:54], v[39:40], v[15:16]
	s_waitcnt vmcnt(4) lgkmcnt(5)
	v_mul_f64 v[75:76], v[43:44], v[19:20]
	v_mul_f64 v[15:16], v[37:38], v[15:16]
	v_mul_f64 v[19:20], v[41:42], v[19:20]
	s_waitcnt vmcnt(3) lgkmcnt(4)
	v_mul_f64 v[77:78], v[47:48], v[23:24]
	s_waitcnt vmcnt(2) lgkmcnt(3)
	v_mul_f64 v[79:80], v[51:52], v[27:28]
	v_mul_f64 v[23:24], v[45:46], v[23:24]
	v_mul_f64 v[27:28], v[49:50], v[27:28]
	;; [unrolled: 6-line block ×3, first 2 shown]
	v_fma_f64 v[37:38], v[37:38], v[13:14], -v[53:54]
	v_fma_f64 v[41:42], v[41:42], v[17:18], -v[75:76]
	v_fma_f64 v[39:40], v[39:40], v[13:14], v[15:16]
	v_fma_f64 v[43:44], v[43:44], v[17:18], v[19:20]
	v_fma_f64 v[45:46], v[45:46], v[21:22], -v[77:78]
	v_fma_f64 v[49:50], v[49:50], v[25:26], -v[79:80]
	v_fma_f64 v[21:22], v[47:48], v[21:22], v[23:24]
	v_fma_f64 v[23:24], v[51:52], v[25:26], v[27:28]
	;; [unrolled: 4-line block ×3, first 2 shown]
	v_lshrrev_b16 v51, 1, v8
	v_mov_b32_e32 v52, 0x97b5
	v_mul_lo_u16 v53, v5, 19
	ds_read_b128 v[13:16], v62
	ds_read_b128 v[17:20], v62 offset:2016
	s_waitcnt lgkmcnt(0)
	s_barrier
	v_mul_u32_u24_sdwa v63, v51, v52 dst_sel:DWORD dst_unused:UNUSED_PAD src0_sel:WORD_0 src1_sel:DWORD
	v_lshrrev_b16 v83, 10, v53
	buffer_gl0_inv
	v_add_f64 v[33:34], v[37:38], v[41:42]
	v_lshrrev_b32_e32 v84, 20, v63
	v_add_f64 v[35:36], v[39:40], v[43:44]
	v_mul_lo_u16 v87, v83, 54
	v_add_f64 v[47:48], v[45:46], v[49:50]
	v_add_f64 v[5:6], v[21:22], v[23:24]
	;; [unrolled: 1-line block ×8, first 2 shown]
	v_add_f64 v[39:40], v[39:40], -v[43:44]
	v_add_f64 v[37:38], v[37:38], -v[41:42]
	v_add_f64 v[69:70], v[19:20], v[21:22]
	v_add_f64 v[67:68], v[17:18], v[45:46]
	v_add_f64 v[79:80], v[21:22], -v[23:24]
	v_add_f64 v[45:46], v[45:46], -v[49:50]
	;; [unrolled: 1-line block ×3, first 2 shown]
	v_sub_nc_u16 v87, v60, v87
	v_fma_f64 v[33:34], v[33:34], -0.5, v[13:14]
	v_fma_f64 v[35:36], v[35:36], -0.5, v[15:16]
	;; [unrolled: 1-line block ×4, first 2 shown]
	v_add_f64 v[21:22], v[75:76], v[27:28]
	v_fma_f64 v[51:52], v[51:52], -0.5, v[71:72]
	v_add_f64 v[71:72], v[25:26], -v[27:28]
	v_fma_f64 v[53:54], v[53:54], -0.5, v[73:74]
	v_add_f64 v[13:14], v[63:64], v[41:42]
	v_add_f64 v[15:16], v[65:66], v[43:44]
	v_mul_lo_u16 v73, v84, 54
	v_add_f64 v[19:20], v[69:70], v[23:24]
	v_add_f64 v[23:24], v[77:78], v[31:32]
	;; [unrolled: 1-line block ×3, first 2 shown]
	v_fma_f64 v[25:26], v[39:40], s[0:1], v[33:34]
	v_fma_f64 v[29:30], v[39:40], s[4:5], v[33:34]
	;; [unrolled: 1-line block ×12, first 2 shown]
	v_lshlrev_b32_sdwa v5, v12, v9 dst_sel:DWORD dst_unused:UNUSED_PAD src0_sel:DWORD src1_sel:BYTE_0
	v_lshlrev_b32_sdwa v6, v12, v88 dst_sel:DWORD dst_unused:UNUSED_PAD src0_sel:DWORD src1_sel:BYTE_0
	v_sub_nc_u16 v80, v8, v73
	v_lshlrev_b32_sdwa v8, v12, v86 dst_sel:DWORD dst_unused:UNUSED_PAD src0_sel:DWORD src1_sel:WORD_0
	v_sub_nc_u16 v79, v61, v11
	v_lshlrev_b32_sdwa v9, v4, v87 dst_sel:DWORD dst_unused:UNUSED_PAD src0_sel:DWORD src1_sel:BYTE_0
	v_add3_u32 v5, 0, v85, v5
	v_add3_u32 v6, 0, v7, v6
	;; [unrolled: 1-line block ×3, first 2 shown]
	v_lshlrev_b32_sdwa v11, v4, v79 dst_sel:DWORD dst_unused:UNUSED_PAD src0_sel:DWORD src1_sel:BYTE_0
	ds_write_b128 v5, v[13:16]
	ds_write_b128 v5, v[25:28] offset:288
	ds_write_b128 v5, v[29:32] offset:576
	ds_write_b128 v6, v[17:20]
	ds_write_b128 v6, v[33:36] offset:288
	ds_write_b128 v6, v[37:40] offset:576
	;; [unrolled: 3-line block ×3, first 2 shown]
	s_waitcnt lgkmcnt(0)
	s_barrier
	buffer_gl0_inv
	s_clause 0x1
	global_load_dwordx4 v[5:8], v9, s[12:13] offset:832
	global_load_dwordx4 v[13:16], v9, s[12:13] offset:848
	v_lshlrev_b32_sdwa v4, v4, v80 dst_sel:DWORD dst_unused:UNUSED_PAD src0_sel:DWORD src1_sel:WORD_0
	s_clause 0x3
	global_load_dwordx4 v[17:20], v11, s[12:13] offset:832
	global_load_dwordx4 v[21:24], v11, s[12:13] offset:848
	global_load_dwordx4 v[25:28], v4, s[12:13] offset:832
	global_load_dwordx4 v[29:32], v4, s[12:13] offset:848
	ds_read_b128 v[33:36], v62 offset:6048
	ds_read_b128 v[37:40], v62 offset:12096
	;; [unrolled: 1-line block ×7, first 2 shown]
	s_waitcnt vmcnt(5) lgkmcnt(6)
	v_mul_f64 v[9:10], v[35:36], v[7:8]
	s_waitcnt vmcnt(4) lgkmcnt(5)
	v_mul_f64 v[53:54], v[39:40], v[15:16]
	v_mul_f64 v[7:8], v[33:34], v[7:8]
	v_mul_f64 v[15:16], v[37:38], v[15:16]
	s_waitcnt vmcnt(3) lgkmcnt(4)
	v_mul_f64 v[71:72], v[43:44], v[19:20]
	s_waitcnt vmcnt(2) lgkmcnt(3)
	v_mul_f64 v[73:74], v[47:48], v[23:24]
	v_mul_f64 v[19:20], v[41:42], v[19:20]
	v_mul_f64 v[23:24], v[45:46], v[23:24]
	;; [unrolled: 6-line block ×3, first 2 shown]
	v_fma_f64 v[33:34], v[33:34], v[5:6], -v[9:10]
	v_fma_f64 v[37:38], v[37:38], v[13:14], -v[53:54]
	v_fma_f64 v[35:36], v[35:36], v[5:6], v[7:8]
	v_fma_f64 v[15:16], v[39:40], v[13:14], v[15:16]
	v_fma_f64 v[13:14], v[41:42], v[17:18], -v[71:72]
	v_fma_f64 v[39:40], v[45:46], v[21:22], -v[73:74]
	v_fma_f64 v[17:18], v[43:44], v[17:18], v[19:20]
	v_fma_f64 v[19:20], v[47:48], v[21:22], v[23:24]
	;; [unrolled: 4-line block ×3, first 2 shown]
	ds_read_b128 v[4:7], v62
	ds_read_b128 v[8:11], v62 offset:2016
	v_mov_b32_e32 v75, 0xa20
	s_waitcnt lgkmcnt(0)
	s_barrier
	buffer_gl0_inv
	v_add_f64 v[29:30], v[33:34], v[37:38]
	v_add_f64 v[31:32], v[35:36], v[15:16]
	;; [unrolled: 1-line block ×10, first 2 shown]
	v_add_f64 v[35:36], v[35:36], -v[15:16]
	v_add_f64 v[33:34], v[33:34], -v[37:38]
	v_add_f64 v[53:54], v[8:9], v[13:14]
	v_add_f64 v[63:64], v[10:11], v[17:18]
	v_add_f64 v[73:74], v[17:18], -v[19:20]
	v_fma_f64 v[4:5], v[29:30], -0.5, v[4:5]
	v_fma_f64 v[6:7], v[31:32], -0.5, v[6:7]
	;; [unrolled: 1-line block ×3, first 2 shown]
	v_add_f64 v[41:42], v[13:14], -v[39:40]
	v_fma_f64 v[10:11], v[43:44], -0.5, v[10:11]
	v_add_f64 v[43:44], v[25:26], -v[27:28]
	v_fma_f64 v[45:46], v[45:46], -0.5, v[67:68]
	;; [unrolled: 2-line block ×3, first 2 shown]
	v_add_f64 v[13:14], v[49:50], v[37:38]
	v_add_f64 v[15:16], v[51:52], v[15:16]
	;; [unrolled: 1-line block ×6, first 2 shown]
	v_mul_u32_u24_sdwa v69, v83, v75 dst_sel:DWORD dst_unused:UNUSED_PAD src0_sel:WORD_0 src1_sel:DWORD
	v_fma_f64 v[25:26], v[35:36], s[0:1], v[4:5]
	v_fma_f64 v[29:30], v[35:36], s[4:5], v[4:5]
	;; [unrolled: 1-line block ×12, first 2 shown]
	v_lshlrev_b32_sdwa v43, v12, v87 dst_sel:DWORD dst_unused:UNUSED_PAD src0_sel:DWORD src1_sel:BYTE_0
	v_mul_u32_u24_sdwa v41, v55, v75 dst_sel:DWORD dst_unused:UNUSED_PAD src0_sel:WORD_0 src1_sel:DWORD
	v_lshlrev_b32_sdwa v44, v12, v79 dst_sel:DWORD dst_unused:UNUSED_PAD src0_sel:DWORD src1_sel:BYTE_0
	v_mul_u32_u24_e32 v42, 0xa20, v84
	v_lshlrev_b32_sdwa v12, v12, v80 dst_sel:DWORD dst_unused:UNUSED_PAD src0_sel:DWORD src1_sel:WORD_0
	v_add3_u32 v43, 0, v69, v43
	v_cmp_gt_u32_e64 s0, 36, v60
	v_add3_u32 v41, 0, v41, v44
	v_add3_u32 v12, 0, v42, v12
	ds_write_b128 v43, v[13:16]
	ds_write_b128 v43, v[25:28] offset:864
	ds_write_b128 v43, v[29:32] offset:1728
	ds_write_b128 v41, v[17:20]
	ds_write_b128 v41, v[33:36] offset:864
	ds_write_b128 v41, v[37:40] offset:1728
	;; [unrolled: 3-line block ×3, first 2 shown]
	s_waitcnt lgkmcnt(0)
	s_barrier
	buffer_gl0_inv
	ds_read_b128 v[28:31], v62
	ds_read_b128 v[48:51], v62 offset:2592
	ds_read_b128 v[44:47], v62 offset:5184
	;; [unrolled: 1-line block ×6, first 2 shown]
                                        ; implicit-def: $vgpr26_vgpr27
                                        ; implicit-def: $vgpr22_vgpr23
                                        ; implicit-def: $vgpr18_vgpr19
                                        ; implicit-def: $vgpr14_vgpr15
	s_and_saveexec_b32 s1, s0
	s_cbranch_execz .LBB0_25
; %bb.24:
	ds_read_b128 v[4:7], v62 offset:2016
	ds_read_b128 v[8:11], v62 offset:4608
	ds_read_b128 v[0:3], v62 offset:7200
	ds_read_b128 v[12:15], v62 offset:9792
	ds_read_b128 v[16:19], v62 offset:12384
	ds_read_b128 v[20:23], v62 offset:14976
	ds_read_b128 v[24:27], v62 offset:17568
.LBB0_25:
	s_or_b32 exec_lo, exec_lo, s1
	v_mul_u32_u24_e32 v63, 6, v60
	s_mov_b32 s8, 0x37e14327
	s_mov_b32 s16, 0xe976ee23
	s_mov_b32 s9, 0x3fe948f6
	s_mov_b32 s17, 0xbfe11646
	v_lshlrev_b32_e32 v63, 4, v63
	s_mov_b32 s6, 0x429ad128
	s_mov_b32 s4, 0x36b3c0b5
	;; [unrolled: 1-line block ×4, first 2 shown]
	v_add_co_u32 v63, s1, s12, v63
	v_add_co_ci_u32_e64 v64, null, s13, 0, s1
	s_mov_b32 s14, 0xaaaaaaaa
	v_add_co_u32 v75, s1, 0x800, v63
	v_add_co_ci_u32_e64 v76, s1, 0, v64, s1
	v_add_co_u32 v83, s1, 0xa00, v63
	v_add_co_ci_u32_e64 v84, s1, 0, v64, s1
	;; [unrolled: 2-line block ×3, first 2 shown]
	s_clause 0x5
	global_load_dwordx4 v[63:66], v[75:76], off offset:512
	global_load_dwordx4 v[67:70], v[83:84], off offset:16
	global_load_dwordx4 v[71:74], v[71:72], off offset:16
	global_load_dwordx4 v[75:78], v[75:76], off offset:576
	global_load_dwordx4 v[79:82], v[83:84], off offset:32
	global_load_dwordx4 v[83:86], v[83:84], off offset:48
	s_mov_b32 s22, 0xb247c609
	s_mov_b32 s15, 0xbff2aaaa
	;; [unrolled: 1-line block ×11, first 2 shown]
	s_waitcnt vmcnt(0) lgkmcnt(0)
	s_barrier
	buffer_gl0_inv
	v_mul_f64 v[87:88], v[50:51], v[65:66]
	v_mul_f64 v[65:66], v[48:49], v[65:66]
	;; [unrolled: 1-line block ×12, first 2 shown]
	v_fma_f64 v[48:49], v[48:49], v[63:64], -v[87:88]
	v_fma_f64 v[50:51], v[50:51], v[63:64], v[65:66]
	v_fma_f64 v[44:45], v[44:45], v[67:68], -v[89:90]
	v_fma_f64 v[46:47], v[46:47], v[67:68], v[69:70]
	;; [unrolled: 2-line block ×6, first 2 shown]
	v_add_f64 v[63:64], v[48:49], v[52:53]
	v_add_f64 v[65:66], v[50:51], v[54:55]
	;; [unrolled: 1-line block ×4, first 2 shown]
	v_add_f64 v[40:41], v[44:45], -v[40:41]
	v_add_f64 v[42:43], v[46:47], -v[42:43]
	v_add_f64 v[44:45], v[36:37], v[32:33]
	v_add_f64 v[46:47], v[38:39], v[34:35]
	v_add_f64 v[32:33], v[32:33], -v[36:37]
	v_add_f64 v[34:35], v[34:35], -v[38:39]
	;; [unrolled: 1-line block ×4, first 2 shown]
	v_add_f64 v[48:49], v[67:68], v[63:64]
	v_add_f64 v[50:51], v[69:70], v[65:66]
	v_add_f64 v[52:53], v[63:64], -v[44:45]
	v_add_f64 v[54:55], v[65:66], -v[46:47]
	;; [unrolled: 1-line block ×6, first 2 shown]
	v_add_f64 v[40:41], v[32:33], v[40:41]
	v_add_f64 v[42:43], v[34:35], v[42:43]
	v_add_f64 v[79:80], v[36:37], -v[32:33]
	v_add_f64 v[81:82], v[38:39], -v[34:35]
	v_add_f64 v[48:49], v[44:45], v[48:49]
	v_add_f64 v[50:51], v[46:47], v[50:51]
	v_add_f64 v[44:45], v[44:45], -v[67:68]
	v_add_f64 v[46:47], v[46:47], -v[69:70]
	v_mul_f64 v[52:53], v[52:53], s[8:9]
	v_mul_f64 v[54:55], v[54:55], s[8:9]
	;; [unrolled: 1-line block ×6, first 2 shown]
	v_add_f64 v[36:37], v[40:41], v[36:37]
	v_add_f64 v[38:39], v[42:43], v[38:39]
	;; [unrolled: 1-line block ×4, first 2 shown]
	v_add_f64 v[28:29], v[67:68], -v[63:64]
	v_add_f64 v[30:31], v[69:70], -v[65:66]
	v_mul_f64 v[63:64], v[44:45], s[4:5]
	v_mul_f64 v[65:66], v[46:47], s[4:5]
	v_fma_f64 v[40:41], v[44:45], s[4:5], v[52:53]
	v_fma_f64 v[42:43], v[46:47], s[4:5], v[54:55]
	;; [unrolled: 1-line block ×4, first 2 shown]
	v_fma_f64 v[67:68], v[75:76], s[6:7], -v[71:72]
	v_fma_f64 v[69:70], v[77:78], s[6:7], -v[73:74]
	;; [unrolled: 1-line block ×4, first 2 shown]
	v_fma_f64 v[48:49], v[48:49], s[14:15], v[32:33]
	v_fma_f64 v[50:51], v[50:51], s[14:15], v[34:35]
	v_fma_f64 v[52:53], v[28:29], s[20:21], -v[52:53]
	v_fma_f64 v[54:55], v[30:31], s[20:21], -v[54:55]
	;; [unrolled: 1-line block ×4, first 2 shown]
	v_fma_f64 v[65:66], v[36:37], s[26:27], v[44:45]
	v_fma_f64 v[63:64], v[38:39], s[26:27], v[46:47]
	;; [unrolled: 1-line block ×6, first 2 shown]
	v_add_f64 v[75:76], v[40:41], v[48:49]
	v_add_f64 v[77:78], v[42:43], v[50:51]
	;; [unrolled: 1-line block ×7, first 2 shown]
	v_add_f64 v[38:39], v[77:78], -v[65:66]
	v_add_f64 v[40:41], v[73:74], v[52:53]
	v_add_f64 v[42:43], v[54:55], -v[71:72]
	v_add_f64 v[44:45], v[28:29], -v[69:70]
	v_add_f64 v[46:47], v[67:68], v[30:31]
	v_add_f64 v[48:49], v[69:70], v[28:29]
	v_add_f64 v[50:51], v[30:31], -v[67:68]
	v_add_f64 v[52:53], v[52:53], -v[73:74]
	v_add_f64 v[54:55], v[71:72], v[54:55]
	v_add_f64 v[63:64], v[75:76], -v[63:64]
	v_add_f64 v[65:66], v[65:66], v[77:78]
	v_mov_b32_e32 v29, 0
	ds_write_b128 v62, v[32:35]
	ds_write_b128 v62, v[36:39] offset:2592
	ds_write_b128 v62, v[40:43] offset:5184
	;; [unrolled: 1-line block ×6, first 2 shown]
	s_and_saveexec_b32 s1, s0
	s_cbranch_execz .LBB0_27
; %bb.26:
	v_subrev_nc_u32_e32 v28, 36, v60
	v_cndmask_b32_e64 v28, v28, v61, s0
	v_mul_i32_i24_e32 v28, 6, v28
	v_lshlrev_b64 v[28:29], 4, v[28:29]
	v_add_co_u32 v28, s0, s12, v28
	v_add_co_ci_u32_e64 v29, s0, s13, v29, s0
	v_add_co_u32 v48, s0, 0xa00, v28
	v_add_co_ci_u32_e64 v49, s0, 0, v29, s0
	;; [unrolled: 2-line block ×4, first 2 shown]
	s_clause 0x5
	global_load_dwordx4 v[28:31], v[48:49], off offset:16
	global_load_dwordx4 v[32:35], v[36:37], off offset:576
	global_load_dwordx4 v[36:39], v[36:37], off offset:512
	global_load_dwordx4 v[40:43], v[40:41], off offset:16
	global_load_dwordx4 v[44:47], v[48:49], off offset:48
	global_load_dwordx4 v[48:51], v[48:49], off offset:32
	s_waitcnt vmcnt(5)
	v_mul_f64 v[52:53], v[0:1], v[30:31]
	s_waitcnt vmcnt(4)
	v_mul_f64 v[54:55], v[20:21], v[34:35]
	;; [unrolled: 2-line block ×4, first 2 shown]
	v_mul_f64 v[30:31], v[2:3], v[30:31]
	v_mul_f64 v[34:35], v[22:23], v[34:35]
	;; [unrolled: 1-line block ×4, first 2 shown]
	s_waitcnt vmcnt(1)
	v_mul_f64 v[67:68], v[18:19], v[46:47]
	s_waitcnt vmcnt(0)
	v_mul_f64 v[69:70], v[14:15], v[50:51]
	v_mul_f64 v[50:51], v[12:13], v[50:51]
	;; [unrolled: 1-line block ×3, first 2 shown]
	v_fma_f64 v[2:3], v[2:3], v[28:29], v[52:53]
	v_fma_f64 v[22:23], v[22:23], v[32:33], v[54:55]
	;; [unrolled: 1-line block ×4, first 2 shown]
	v_fma_f64 v[0:1], v[0:1], v[28:29], -v[30:31]
	v_fma_f64 v[20:21], v[20:21], v[32:33], -v[34:35]
	;; [unrolled: 1-line block ×6, first 2 shown]
	v_fma_f64 v[14:15], v[14:15], v[48:49], v[50:51]
	v_fma_f64 v[18:19], v[18:19], v[44:45], v[46:47]
	v_add_f64 v[28:29], v[2:3], v[22:23]
	v_add_f64 v[2:3], v[2:3], -v[22:23]
	v_add_f64 v[30:31], v[10:11], v[26:27]
	v_add_f64 v[10:11], v[10:11], -v[26:27]
	;; [unrolled: 2-line block ×4, first 2 shown]
	v_add_f64 v[36:37], v[16:17], -v[12:13]
	v_add_f64 v[12:13], v[12:13], v[16:17]
	v_add_f64 v[20:21], v[14:15], v[18:19]
	v_add_f64 v[14:15], v[18:19], -v[14:15]
	v_add_f64 v[16:17], v[28:29], v[30:31]
	v_add_f64 v[42:43], v[2:3], -v[10:11]
	v_add_f64 v[18:19], v[32:33], v[34:35]
	v_add_f64 v[38:39], v[0:1], -v[8:9]
	v_add_f64 v[22:23], v[36:37], -v[0:1]
	v_add_f64 v[26:27], v[34:35], -v[12:13]
	;; [unrolled: 1-line block ×4, first 2 shown]
	v_add_f64 v[44:45], v[36:37], v[0:1]
	v_add_f64 v[36:37], v[8:9], -v[36:37]
	v_add_f64 v[46:47], v[14:15], v[2:3]
	v_add_f64 v[14:15], v[10:11], -v[14:15]
	;; [unrolled: 2-line block ×4, first 2 shown]
	v_mul_f64 v[22:23], v[22:23], s[16:17]
	v_mul_f64 v[26:27], v[26:27], s[8:9]
	;; [unrolled: 1-line block ×4, first 2 shown]
	v_add_f64 v[8:9], v[44:45], v[8:9]
	v_add_f64 v[10:11], v[46:47], v[10:11]
	;; [unrolled: 1-line block ×3, first 2 shown]
	v_add_f64 v[6:7], v[28:29], -v[30:31]
	v_mul_f64 v[28:29], v[20:21], s[4:5]
	v_mul_f64 v[30:31], v[40:41], s[16:17]
	v_add_f64 v[0:1], v[4:5], v[18:19]
	v_mul_f64 v[40:41], v[42:43], s[6:7]
	v_add_f64 v[4:5], v[32:33], -v[34:35]
	v_mul_f64 v[32:33], v[12:13], s[4:5]
	v_fma_f64 v[34:35], v[36:37], s[22:23], v[22:23]
	v_fma_f64 v[20:21], v[20:21], s[4:5], v[24:25]
	;; [unrolled: 1-line block ×3, first 2 shown]
	v_fma_f64 v[36:37], v[36:37], s[24:25], -v[48:49]
	v_fma_f64 v[22:23], v[38:39], s[6:7], -v[22:23]
	v_fma_f64 v[16:17], v[16:17], s[14:15], v[2:3]
	v_fma_f64 v[24:25], v[6:7], s[20:21], -v[24:25]
	v_fma_f64 v[6:7], v[6:7], s[18:19], -v[28:29]
	v_fma_f64 v[28:29], v[14:15], s[22:23], v[30:31]
	v_fma_f64 v[18:19], v[18:19], s[14:15], v[0:1]
	v_fma_f64 v[14:15], v[14:15], s[24:25], -v[40:41]
	v_fma_f64 v[26:27], v[4:5], s[20:21], -v[26:27]
	v_fma_f64 v[30:31], v[42:43], s[6:7], -v[30:31]
	v_fma_f64 v[4:5], v[4:5], s[18:19], -v[32:33]
	v_fma_f64 v[32:33], v[8:9], s[26:27], v[34:35]
	v_fma_f64 v[34:35], v[8:9], s[26:27], v[36:37]
	;; [unrolled: 1-line block ×3, first 2 shown]
	v_add_f64 v[20:21], v[20:21], v[16:17]
	v_add_f64 v[22:23], v[24:25], v[16:17]
	;; [unrolled: 1-line block ×3, first 2 shown]
	v_fma_f64 v[28:29], v[10:11], s[26:27], v[28:29]
	v_add_f64 v[38:39], v[12:13], v[18:19]
	v_fma_f64 v[36:37], v[10:11], s[26:27], v[14:15]
	v_add_f64 v[40:41], v[26:27], v[18:19]
	;; [unrolled: 2-line block ×3, first 2 shown]
	v_add_f64 v[26:27], v[20:21], -v[32:33]
	v_add_f64 v[6:7], v[32:33], v[20:21]
	v_add_f64 v[10:11], v[34:35], v[22:23]
	v_add_f64 v[22:23], v[22:23], -v[34:35]
	v_add_f64 v[24:25], v[28:29], v[38:39]
	v_add_f64 v[14:15], v[16:17], -v[8:9]
	v_add_f64 v[20:21], v[36:37], v[40:41]
	v_add_f64 v[18:19], v[8:9], v[16:17]
	v_add_f64 v[16:17], v[4:5], -v[30:31]
	v_add_f64 v[12:13], v[30:31], v[4:5]
	v_add_f64 v[8:9], v[40:41], -v[36:37]
	v_add_f64 v[4:5], v[38:39], -v[28:29]
	ds_write_b128 v62, v[0:3] offset:2016
	ds_write_b128 v62, v[24:27] offset:4608
	;; [unrolled: 1-line block ×7, first 2 shown]
.LBB0_27:
	s_or_b32 exec_lo, exec_lo, s1
	s_waitcnt lgkmcnt(0)
	s_barrier
	buffer_gl0_inv
	s_and_saveexec_b32 s0, vcc_lo
	s_cbranch_execz .LBB0_29
; %bb.28:
	v_mul_lo_u32 v2, s3, v58
	v_mul_lo_u32 v3, s2, v59
	v_mad_u64_u32 v[0:1], null, s2, v58, 0
	v_mov_b32_e32 v61, 0
	v_lshlrev_b64 v[8:9], 4, v[56:57]
	v_lshl_add_u32 v28, v60, 4, 0
	v_add_nc_u32_e32 v10, 0x7e, v60
	v_add_nc_u32_e32 v12, 0xfc, v60
	v_lshlrev_b64 v[14:15], 4, v[60:61]
	v_add3_u32 v1, v1, v3, v2
	v_mov_b32_e32 v11, v61
	v_mov_b32_e32 v13, v61
	v_add_nc_u32_e32 v22, 0x17a, v60
	v_mov_b32_e32 v23, v61
	v_lshlrev_b64 v[16:17], 4, v[0:1]
	ds_read_b128 v[0:3], v28
	ds_read_b128 v[4:7], v28 offset:2016
	v_add_nc_u32_e32 v24, 0x1f8, v60
	v_mov_b32_e32 v25, v61
	v_lshlrev_b64 v[22:23], 4, v[22:23]
	v_add_co_u32 v18, vcc_lo, s10, v16
	v_add_co_ci_u32_e32 v19, vcc_lo, s11, v17, vcc_lo
	v_lshlrev_b64 v[16:17], 4, v[10:11]
	v_add_co_u32 v30, vcc_lo, v18, v8
	v_add_co_ci_u32_e32 v31, vcc_lo, v19, v9, vcc_lo
	;; [unrolled: 3-line block ×3, first 2 shown]
	ds_read_b128 v[8:11], v28 offset:4032
	ds_read_b128 v[12:15], v28 offset:6048
	v_add_co_u32 v16, vcc_lo, v30, v16
	v_add_co_ci_u32_e32 v17, vcc_lo, v31, v17, vcc_lo
	v_add_co_u32 v18, vcc_lo, v30, v18
	v_add_co_ci_u32_e32 v19, vcc_lo, v31, v19, vcc_lo
	v_add_co_u32 v22, vcc_lo, v30, v22
	s_waitcnt lgkmcnt(3)
	global_store_dwordx4 v[20:21], v[0:3], off
	s_waitcnt lgkmcnt(2)
	global_store_dwordx4 v[16:17], v[4:7], off
	v_add_nc_u32_e32 v2, 0x276, v60
	v_mov_b32_e32 v3, v61
	v_add_co_ci_u32_e32 v23, vcc_lo, v31, v23, vcc_lo
	v_lshlrev_b64 v[0:1], 4, v[24:25]
	s_waitcnt lgkmcnt(1)
	global_store_dwordx4 v[18:19], v[8:11], off
	s_waitcnt lgkmcnt(0)
	global_store_dwordx4 v[22:23], v[12:15], off
	v_lshlrev_b64 v[8:9], 4, v[2:3]
	v_add_co_u32 v20, vcc_lo, v30, v0
	v_add_nc_u32_e32 v10, 0x2f4, v60
	v_mov_b32_e32 v11, v61
	v_add_co_ci_u32_e32 v21, vcc_lo, v31, v1, vcc_lo
	v_add_co_u32 v22, vcc_lo, v30, v8
	ds_read_b128 v[0:3], v28 offset:8064
	ds_read_b128 v[4:7], v28 offset:10080
	v_add_co_ci_u32_e32 v23, vcc_lo, v31, v9, vcc_lo
	v_lshlrev_b64 v[26:27], 4, v[10:11]
	ds_read_b128 v[8:11], v28 offset:12096
	ds_read_b128 v[12:15], v28 offset:14112
	;; [unrolled: 1-line block ×3, first 2 shown]
	v_add_nc_u32_e32 v24, 0x372, v60
	v_add_nc_u32_e32 v60, 0x3f0, v60
	v_add_co_u32 v26, vcc_lo, v30, v26
	v_lshlrev_b64 v[24:25], 4, v[24:25]
	v_lshlrev_b64 v[28:29], 4, v[60:61]
	v_add_co_ci_u32_e32 v27, vcc_lo, v31, v27, vcc_lo
	v_add_co_u32 v24, vcc_lo, v30, v24
	v_add_co_ci_u32_e32 v25, vcc_lo, v31, v25, vcc_lo
	v_add_co_u32 v28, vcc_lo, v30, v28
	v_add_co_ci_u32_e32 v29, vcc_lo, v31, v29, vcc_lo
	s_waitcnt lgkmcnt(4)
	global_store_dwordx4 v[20:21], v[0:3], off
	s_waitcnt lgkmcnt(3)
	global_store_dwordx4 v[22:23], v[4:7], off
	;; [unrolled: 2-line block ×5, first 2 shown]
.LBB0_29:
	s_endpgm
	.section	.rodata,"a",@progbits
	.p2align	6, 0x0
	.amdhsa_kernel fft_rtc_fwd_len1134_factors_2_3_3_3_3_7_wgs_126_tpt_126_dp_op_CI_CI_unitstride_sbrr_C2R_dirReg
		.amdhsa_group_segment_fixed_size 0
		.amdhsa_private_segment_fixed_size 0
		.amdhsa_kernarg_size 104
		.amdhsa_user_sgpr_count 6
		.amdhsa_user_sgpr_private_segment_buffer 1
		.amdhsa_user_sgpr_dispatch_ptr 0
		.amdhsa_user_sgpr_queue_ptr 0
		.amdhsa_user_sgpr_kernarg_segment_ptr 1
		.amdhsa_user_sgpr_dispatch_id 0
		.amdhsa_user_sgpr_flat_scratch_init 0
		.amdhsa_user_sgpr_private_segment_size 0
		.amdhsa_wavefront_size32 1
		.amdhsa_uses_dynamic_stack 0
		.amdhsa_system_sgpr_private_segment_wavefront_offset 0
		.amdhsa_system_sgpr_workgroup_id_x 1
		.amdhsa_system_sgpr_workgroup_id_y 0
		.amdhsa_system_sgpr_workgroup_id_z 0
		.amdhsa_system_sgpr_workgroup_info 0
		.amdhsa_system_vgpr_workitem_id 0
		.amdhsa_next_free_vgpr 99
		.amdhsa_next_free_sgpr 28
		.amdhsa_reserve_vcc 1
		.amdhsa_reserve_flat_scratch 0
		.amdhsa_float_round_mode_32 0
		.amdhsa_float_round_mode_16_64 0
		.amdhsa_float_denorm_mode_32 3
		.amdhsa_float_denorm_mode_16_64 3
		.amdhsa_dx10_clamp 1
		.amdhsa_ieee_mode 1
		.amdhsa_fp16_overflow 0
		.amdhsa_workgroup_processor_mode 1
		.amdhsa_memory_ordered 1
		.amdhsa_forward_progress 0
		.amdhsa_shared_vgpr_count 0
		.amdhsa_exception_fp_ieee_invalid_op 0
		.amdhsa_exception_fp_denorm_src 0
		.amdhsa_exception_fp_ieee_div_zero 0
		.amdhsa_exception_fp_ieee_overflow 0
		.amdhsa_exception_fp_ieee_underflow 0
		.amdhsa_exception_fp_ieee_inexact 0
		.amdhsa_exception_int_div_zero 0
	.end_amdhsa_kernel
	.text
.Lfunc_end0:
	.size	fft_rtc_fwd_len1134_factors_2_3_3_3_3_7_wgs_126_tpt_126_dp_op_CI_CI_unitstride_sbrr_C2R_dirReg, .Lfunc_end0-fft_rtc_fwd_len1134_factors_2_3_3_3_3_7_wgs_126_tpt_126_dp_op_CI_CI_unitstride_sbrr_C2R_dirReg
                                        ; -- End function
	.section	.AMDGPU.csdata,"",@progbits
; Kernel info:
; codeLenInByte = 9996
; NumSgprs: 30
; NumVgprs: 99
; ScratchSize: 0
; MemoryBound: 0
; FloatMode: 240
; IeeeMode: 1
; LDSByteSize: 0 bytes/workgroup (compile time only)
; SGPRBlocks: 3
; VGPRBlocks: 12
; NumSGPRsForWavesPerEU: 30
; NumVGPRsForWavesPerEU: 99
; Occupancy: 9
; WaveLimiterHint : 1
; COMPUTE_PGM_RSRC2:SCRATCH_EN: 0
; COMPUTE_PGM_RSRC2:USER_SGPR: 6
; COMPUTE_PGM_RSRC2:TRAP_HANDLER: 0
; COMPUTE_PGM_RSRC2:TGID_X_EN: 1
; COMPUTE_PGM_RSRC2:TGID_Y_EN: 0
; COMPUTE_PGM_RSRC2:TGID_Z_EN: 0
; COMPUTE_PGM_RSRC2:TIDIG_COMP_CNT: 0
	.text
	.p2alignl 6, 3214868480
	.fill 48, 4, 3214868480
	.type	__hip_cuid_2a9633d867abe4b2,@object ; @__hip_cuid_2a9633d867abe4b2
	.section	.bss,"aw",@nobits
	.globl	__hip_cuid_2a9633d867abe4b2
__hip_cuid_2a9633d867abe4b2:
	.byte	0                               ; 0x0
	.size	__hip_cuid_2a9633d867abe4b2, 1

	.ident	"AMD clang version 19.0.0git (https://github.com/RadeonOpenCompute/llvm-project roc-6.4.0 25133 c7fe45cf4b819c5991fe208aaa96edf142730f1d)"
	.section	".note.GNU-stack","",@progbits
	.addrsig
	.addrsig_sym __hip_cuid_2a9633d867abe4b2
	.amdgpu_metadata
---
amdhsa.kernels:
  - .args:
      - .actual_access:  read_only
        .address_space:  global
        .offset:         0
        .size:           8
        .value_kind:     global_buffer
      - .offset:         8
        .size:           8
        .value_kind:     by_value
      - .actual_access:  read_only
        .address_space:  global
        .offset:         16
        .size:           8
        .value_kind:     global_buffer
      - .actual_access:  read_only
        .address_space:  global
        .offset:         24
        .size:           8
        .value_kind:     global_buffer
      - .actual_access:  read_only
        .address_space:  global
        .offset:         32
        .size:           8
        .value_kind:     global_buffer
      - .offset:         40
        .size:           8
        .value_kind:     by_value
      - .actual_access:  read_only
        .address_space:  global
        .offset:         48
        .size:           8
        .value_kind:     global_buffer
      - .actual_access:  read_only
        .address_space:  global
        .offset:         56
        .size:           8
        .value_kind:     global_buffer
      - .offset:         64
        .size:           4
        .value_kind:     by_value
      - .actual_access:  read_only
        .address_space:  global
        .offset:         72
        .size:           8
        .value_kind:     global_buffer
      - .actual_access:  read_only
        .address_space:  global
        .offset:         80
        .size:           8
        .value_kind:     global_buffer
      - .actual_access:  read_only
        .address_space:  global
        .offset:         88
        .size:           8
        .value_kind:     global_buffer
      - .actual_access:  write_only
        .address_space:  global
        .offset:         96
        .size:           8
        .value_kind:     global_buffer
    .group_segment_fixed_size: 0
    .kernarg_segment_align: 8
    .kernarg_segment_size: 104
    .language:       OpenCL C
    .language_version:
      - 2
      - 0
    .max_flat_workgroup_size: 126
    .name:           fft_rtc_fwd_len1134_factors_2_3_3_3_3_7_wgs_126_tpt_126_dp_op_CI_CI_unitstride_sbrr_C2R_dirReg
    .private_segment_fixed_size: 0
    .sgpr_count:     30
    .sgpr_spill_count: 0
    .symbol:         fft_rtc_fwd_len1134_factors_2_3_3_3_3_7_wgs_126_tpt_126_dp_op_CI_CI_unitstride_sbrr_C2R_dirReg.kd
    .uniform_work_group_size: 1
    .uses_dynamic_stack: false
    .vgpr_count:     99
    .vgpr_spill_count: 0
    .wavefront_size: 32
    .workgroup_processor_mode: 1
amdhsa.target:   amdgcn-amd-amdhsa--gfx1030
amdhsa.version:
  - 1
  - 2
...

	.end_amdgpu_metadata
